;; amdgpu-corpus repo=ROCm/rocFFT kind=compiled arch=gfx950 opt=O3
	.text
	.amdgcn_target "amdgcn-amd-amdhsa--gfx950"
	.amdhsa_code_object_version 6
	.protected	bluestein_single_fwd_len324_dim1_dp_op_CI_CI ; -- Begin function bluestein_single_fwd_len324_dim1_dp_op_CI_CI
	.globl	bluestein_single_fwd_len324_dim1_dp_op_CI_CI
	.p2align	8
	.type	bluestein_single_fwd_len324_dim1_dp_op_CI_CI,@function
bluestein_single_fwd_len324_dim1_dp_op_CI_CI: ; @bluestein_single_fwd_len324_dim1_dp_op_CI_CI
; %bb.0:
	s_load_dwordx4 s[16:19], s[0:1], 0x28
	v_mul_u32_u24_e32 v1, 0x4be, v0
	v_add_u32_sdwa v92, s2, v1 dst_sel:DWORD dst_unused:UNUSED_PAD src0_sel:DWORD src1_sel:WORD_1
	v_mov_b32_e32 v93, 0
	s_waitcnt lgkmcnt(0)
	v_cmp_gt_u64_e32 vcc, s[16:17], v[92:93]
	s_and_saveexec_b64 s[2:3], vcc
	s_cbranch_execz .LBB0_2
; %bb.1:
	s_load_dwordx4 s[12:15], s[0:1], 0x18
	s_load_dwordx4 s[8:11], s[0:1], 0x0
	v_mov_b32_e32 v2, s18
	v_mov_b32_e32 v3, s19
	s_load_dwordx2 s[0:1], s[0:1], 0x38
	s_waitcnt lgkmcnt(0)
	s_load_dwordx4 s[4:7], s[14:15], 0x0
	s_waitcnt lgkmcnt(0)
	v_mad_u64_u32 v[94:95], s[2:3], s6, v92, 0
	s_load_dwordx4 s[12:15], s[12:13], 0x0
	v_mov_b32_e32 v6, v95
	v_mad_u64_u32 v[96:97], s[2:3], s7, v92, v[6:7]
	v_mov_b32_e32 v97, 0xfffff5e0
	s_waitcnt lgkmcnt(0)
	v_mad_u64_u32 v[4:5], s[2:3], s14, v92, 0
	v_mov_b32_e32 v6, v5
	v_mad_u64_u32 v[6:7], s[2:3], s15, v92, v[6:7]
	v_mov_b32_e32 v5, v6
	v_mov_b32_e32 v6, 54
	v_mul_lo_u16_sdwa v1, v1, v6 dst_sel:DWORD dst_unused:UNUSED_PAD src0_sel:WORD_1 src1_sel:DWORD
	v_sub_u16_e32 v100, v0, v1
	v_mad_u64_u32 v[0:1], s[2:3], s12, v100, 0
	v_mov_b32_e32 v6, v1
	v_mad_u64_u32 v[6:7], s[2:3], s13, v100, v[6:7]
	v_mov_b32_e32 v1, v6
	v_lshl_add_u64 v[2:3], v[4:5], 4, v[2:3]
	v_lshlrev_b32_e32 v92, 4, v100
	v_lshl_add_u64 v[0:1], v[0:1], 4, v[2:3]
	v_lshl_add_u64 v[98:99], s[8:9], 0, v[92:93]
	v_mov_b32_e32 v93, 0x6c0
	global_load_dwordx4 v[24:27], v[0:1], off
	v_mad_u64_u32 v[0:1], s[2:3], s12, v93, v[0:1]
	s_mul_i32 s6, s13, 0x6c0
	v_add_u32_e32 v1, s6, v1
	global_load_dwordx4 v[12:15], v92, s[8:9]
	global_load_dwordx4 v[28:31], v[0:1], off
	global_load_dwordx4 v[20:23], v92, s[8:9] offset:1728
	v_mad_u64_u32 v[0:1], s[2:3], s12, v93, v[0:1]
	v_add_u32_e32 v1, s6, v1
	global_load_dwordx4 v[32:35], v[0:1], off
	global_load_dwordx4 v[16:19], v92, s[8:9] offset:3456
	v_mad_u64_u32 v[0:1], s[2:3], s12, v97, v[0:1]
	s_mul_i32 s2, s13, 0xfffff5e0
	s_sub_i32 s2, s2, s12
	v_add_u32_e32 v1, s2, v1
	global_load_dwordx4 v[36:39], v[0:1], off
	global_load_dwordx4 v[8:11], v92, s[8:9] offset:864
	v_mad_u64_u32 v[0:1], s[2:3], s12, v93, v[0:1]
	v_add_u32_e32 v1, s6, v1
	v_mad_u64_u32 v[48:49], s[2:3], s12, v93, v[0:1]
	s_movk_i32 s2, 0x1000
	global_load_dwordx4 v[40:43], v[0:1], off
	global_load_dwordx4 v[4:7], v92, s[8:9] offset:2592
	v_add_co_u32_e32 v80, vcc, s2, v98
	v_add_u32_e32 v49, s6, v49
	s_nop 0
	v_addc_co_u32_e32 v81, vcc, 0, v99, vcc
	global_load_dwordx4 v[0:3], v[80:81], off offset:224
	global_load_dwordx4 v[44:47], v[48:49], off
	s_mov_b32 s6, 0xe8584caa
	s_mov_b32 s7, 0x3febb67a
	;; [unrolled: 1-line block ×4, first 2 shown]
	v_add_u32_e32 v72, 54, v100
	s_movk_i32 s8, 0xab
	s_waitcnt vmcnt(10)
	v_mul_f64 v[48:49], v[26:27], v[14:15]
	v_mul_f64 v[50:51], v[24:25], v[14:15]
	v_fmac_f64_e32 v[48:49], v[24:25], v[12:13]
	v_fma_f64 v[50:51], v[26:27], v[12:13], -v[50:51]
	s_waitcnt vmcnt(8)
	v_mul_f64 v[24:25], v[30:31], v[22:23]
	v_mul_f64 v[26:27], v[28:29], v[22:23]
	v_fmac_f64_e32 v[24:25], v[28:29], v[20:21]
	v_fma_f64 v[26:27], v[30:31], v[20:21], -v[26:27]
	ds_write_b128 v92, v[24:27] offset:1728
	s_waitcnt vmcnt(6)
	v_mul_f64 v[24:25], v[34:35], v[18:19]
	v_mul_f64 v[26:27], v[32:33], v[18:19]
	v_fmac_f64_e32 v[24:25], v[32:33], v[16:17]
	v_fma_f64 v[26:27], v[34:35], v[16:17], -v[26:27]
	ds_write_b128 v92, v[24:27] offset:3456
	;; [unrolled: 6-line block ×4, first 2 shown]
	s_waitcnt vmcnt(0)
	v_mul_f64 v[24:25], v[46:47], v[2:3]
	v_mul_f64 v[26:27], v[44:45], v[2:3]
	v_fmac_f64_e32 v[24:25], v[44:45], v[0:1]
	v_fma_f64 v[26:27], v[46:47], v[0:1], -v[26:27]
	ds_write_b128 v92, v[48:51]
	ds_write_b128 v92, v[24:27] offset:4320
	s_waitcnt lgkmcnt(0)
	; wave barrier
	s_waitcnt lgkmcnt(0)
	ds_read_b128 v[24:27], v92
	ds_read_b128 v[28:31], v92 offset:1728
	ds_read_b128 v[32:35], v92 offset:3456
	;; [unrolled: 1-line block ×5, first 2 shown]
	s_waitcnt lgkmcnt(4)
	v_add_f64 v[48:49], v[24:25], v[28:29]
	s_waitcnt lgkmcnt(3)
	v_add_f64 v[50:51], v[28:29], v[32:33]
	v_add_f64 v[54:55], v[30:31], -v[34:35]
	v_fmac_f64_e32 v[24:25], -0.5, v[50:51]
	v_add_f64 v[50:51], v[26:27], v[30:31]
	v_add_f64 v[30:31], v[30:31], v[34:35]
	v_fmac_f64_e32 v[26:27], -0.5, v[30:31]
	v_add_f64 v[28:29], v[28:29], -v[32:33]
	s_waitcnt lgkmcnt(0)
	v_add_f64 v[30:31], v[40:41], v[44:45]
	v_fma_f64 v[52:53], s[6:7], v[54:55], v[24:25]
	v_fmac_f64_e32 v[24:25], s[2:3], v[54:55]
	v_add_f64 v[50:51], v[50:51], v[34:35]
	v_fma_f64 v[54:55], s[2:3], v[28:29], v[26:27]
	v_fmac_f64_e32 v[26:27], s[6:7], v[28:29]
	v_add_f64 v[28:29], v[36:37], v[40:41]
	v_fmac_f64_e32 v[36:37], -0.5, v[30:31]
	v_add_f64 v[30:31], v[42:43], -v[46:47]
	v_add_f64 v[34:35], v[42:43], v[46:47]
	v_add_f64 v[48:49], v[48:49], v[32:33]
	v_fma_f64 v[32:33], s[6:7], v[30:31], v[36:37]
	v_fmac_f64_e32 v[36:37], s[2:3], v[30:31]
	v_add_f64 v[30:31], v[38:39], v[42:43]
	v_fmac_f64_e32 v[38:39], -0.5, v[34:35]
	v_add_f64 v[40:41], v[40:41], -v[44:45]
	v_fma_f64 v[34:35], s[2:3], v[40:41], v[38:39]
	v_fmac_f64_e32 v[38:39], s[6:7], v[40:41]
	v_mul_lo_u16_e32 v40, 3, v100
	v_lshlrev_b32_e32 v95, 4, v40
	s_waitcnt lgkmcnt(0)
	; wave barrier
	ds_write_b128 v95, v[48:51]
	ds_write_b128 v95, v[52:55] offset:16
	ds_write_b128 v95, v[24:27] offset:32
	v_mul_u32_u24_e32 v24, 3, v72
	v_lshlrev_b32_e32 v101, 4, v24
	v_mul_lo_u16_sdwa v24, v100, s8 dst_sel:DWORD dst_unused:UNUSED_PAD src0_sel:BYTE_0 src1_sel:DWORD
	v_lshrrev_b16_e32 v73, 9, v24
	v_mul_lo_u16_e32 v24, 3, v73
	v_sub_u16_e32 v24, v100, v24
	v_add_f64 v[28:29], v[28:29], v[44:45]
	v_and_b32_e32 v88, 0xff, v24
	s_movk_i32 s8, 0x50
	v_mov_b64_e32 v[44:45], s[10:11]
	v_add_f64 v[30:31], v[30:31], v[46:47]
	v_mad_u64_u32 v[46:47], s[12:13], v88, s8, v[44:45]
	ds_write_b128 v101, v[28:31]
	ds_write_b128 v101, v[32:35] offset:16
	ds_write_b128 v101, v[36:39] offset:32
	s_waitcnt lgkmcnt(0)
	; wave barrier
	s_waitcnt lgkmcnt(0)
	global_load_dwordx4 v[36:39], v[46:47], off
	global_load_dwordx4 v[32:35], v[46:47], off offset:16
	global_load_dwordx4 v[28:31], v[46:47], off offset:32
	;; [unrolled: 1-line block ×4, first 2 shown]
	ds_read_b128 v[46:49], v92 offset:864
	ds_read_b128 v[50:53], v92 offset:1728
	;; [unrolled: 1-line block ×4, first 2 shown]
	s_waitcnt vmcnt(4) lgkmcnt(3)
	v_mul_f64 v[62:63], v[48:49], v[38:39]
	v_mul_f64 v[64:65], v[46:47], v[38:39]
	v_fma_f64 v[62:63], v[46:47], v[36:37], -v[62:63]
	s_waitcnt vmcnt(3) lgkmcnt(2)
	v_mul_f64 v[46:47], v[52:53], v[34:35]
	v_mul_f64 v[66:67], v[50:51], v[34:35]
	v_fma_f64 v[50:51], v[50:51], v[32:33], -v[46:47]
	s_waitcnt vmcnt(2) lgkmcnt(1)
	v_mul_f64 v[46:47], v[56:57], v[30:31]
	v_fmac_f64_e32 v[66:67], v[52:53], v[32:33]
	v_mul_f64 v[52:53], v[54:55], v[30:31]
	v_fma_f64 v[54:55], v[54:55], v[28:29], -v[46:47]
	s_waitcnt vmcnt(1) lgkmcnt(0)
	v_mul_f64 v[46:47], v[60:61], v[26:27]
	v_fmac_f64_e32 v[64:65], v[48:49], v[36:37]
	v_fmac_f64_e32 v[52:53], v[56:57], v[28:29]
	v_mul_f64 v[56:57], v[58:59], v[26:27]
	v_fma_f64 v[58:59], v[58:59], v[24:25], -v[46:47]
	ds_read_b128 v[46:49], v92 offset:4320
	v_fmac_f64_e32 v[56:57], v[60:61], v[24:25]
	v_add_f64 v[74:75], v[50:51], v[58:59]
	v_add_f64 v[84:85], v[64:65], v[52:53]
	s_waitcnt vmcnt(0) lgkmcnt(0)
	v_mul_f64 v[60:61], v[48:49], v[42:43]
	v_mul_f64 v[68:69], v[46:47], v[42:43]
	v_fma_f64 v[60:61], v[46:47], v[40:41], -v[60:61]
	v_fmac_f64_e32 v[68:69], v[48:49], v[40:41]
	ds_read_b128 v[46:49], v92
	s_waitcnt lgkmcnt(0)
	; wave barrier
	s_waitcnt lgkmcnt(0)
	v_add_f64 v[70:71], v[46:47], v[50:51]
	v_fmac_f64_e32 v[46:47], -0.5, v[74:75]
	v_add_f64 v[74:75], v[66:67], -v[56:57]
	v_fma_f64 v[76:77], s[6:7], v[74:75], v[46:47]
	v_fmac_f64_e32 v[46:47], s[2:3], v[74:75]
	v_add_f64 v[74:75], v[48:49], v[66:67]
	v_add_f64 v[66:67], v[66:67], v[56:57]
	v_fmac_f64_e32 v[48:49], -0.5, v[66:67]
	v_add_f64 v[50:51], v[50:51], -v[58:59]
	v_fma_f64 v[78:79], s[2:3], v[50:51], v[48:49]
	v_fmac_f64_e32 v[48:49], s[6:7], v[50:51]
	v_add_f64 v[50:51], v[54:55], v[60:61]
	;; [unrolled: 6-line block ×3, first 2 shown]
	v_fmac_f64_e32 v[64:65], -0.5, v[50:51]
	v_add_f64 v[50:51], v[54:55], -v[60:61]
	v_fma_f64 v[86:87], s[2:3], v[50:51], v[64:65]
	v_fmac_f64_e32 v[64:65], s[6:7], v[50:51]
	v_mul_f64 v[54:55], v[62:63], -0.5
	v_fmac_f64_e32 v[54:55], s[6:7], v[64:65]
	v_mul_f64 v[64:65], v[64:65], -0.5
	v_fmac_f64_e32 v[64:65], s[2:3], v[62:63]
	v_add_f64 v[52:53], v[48:49], v[64:65]
	v_add_f64 v[48:49], v[48:49], -v[64:65]
	v_add_f64 v[58:59], v[70:71], v[58:59]
	v_add_f64 v[62:63], v[74:75], v[56:57]
	;; [unrolled: 1-line block ×4, first 2 shown]
	v_mul_f64 v[66:67], v[86:87], s[6:7]
	v_mul_f64 v[68:69], v[82:83], s[2:3]
	v_mul_u32_u24_e32 v70, 18, v73
	v_add_f64 v[50:51], v[46:47], v[54:55]
	v_add_f64 v[46:47], v[46:47], -v[54:55]
	v_add_f64 v[54:55], v[58:59], v[60:61]
	v_add_f64 v[56:57], v[62:63], v[64:65]
	v_fmac_f64_e32 v[66:67], 0.5, v[82:83]
	v_fmac_f64_e32 v[68:69], 0.5, v[86:87]
	v_add_lshl_u32 v102, v70, v88, 4
	v_add_f64 v[58:59], v[58:59], -v[60:61]
	v_add_f64 v[60:61], v[62:63], -v[64:65]
	v_add_f64 v[62:63], v[76:77], v[66:67]
	v_add_f64 v[64:65], v[78:79], v[68:69]
	v_add_f64 v[66:67], v[76:77], -v[66:67]
	v_add_f64 v[68:69], v[78:79], -v[68:69]
	ds_write_b128 v102, v[54:57]
	ds_write_b128 v102, v[62:65] offset:48
	ds_write_b128 v102, v[50:53] offset:96
	;; [unrolled: 1-line block ×5, first 2 shown]
	v_mov_b32_e32 v46, 57
	v_mul_lo_u16_sdwa v46, v100, v46 dst_sel:DWORD dst_unused:UNUSED_PAD src0_sel:BYTE_0 src1_sel:DWORD
	v_lshrrev_b16_e32 v73, 10, v46
	v_mul_lo_u16_e32 v46, 18, v73
	v_sub_u16_e32 v46, v100, v46
	v_and_b32_e32 v103, 0xff, v46
	v_mad_u64_u32 v[64:65], s[8:9], v103, s8, v[44:45]
	s_waitcnt lgkmcnt(0)
	; wave barrier
	s_waitcnt lgkmcnt(0)
	global_load_dwordx4 v[52:55], v[64:65], off offset:240
	global_load_dwordx4 v[48:51], v[64:65], off offset:256
	ds_read_b128 v[44:47], v92 offset:864
	ds_read_b128 v[56:59], v92 offset:1728
	global_load_dwordx4 v[68:71], v[64:65], off offset:288
	v_mul_u32_u24_e32 v73, 0x6c, v73
	v_add_lshl_u32 v103, v73, v103, 4
	v_lshlrev_b32_e32 v73, 5, v100
	s_mov_b64 s[8:9], 0x1440
	s_waitcnt vmcnt(2) lgkmcnt(1)
	v_mul_f64 v[60:61], v[46:47], v[54:55]
	v_fma_f64 v[74:75], v[44:45], v[52:53], -v[60:61]
	global_load_dwordx4 v[60:63], v[64:65], off offset:272
	v_mul_f64 v[66:67], v[44:45], v[54:55]
	s_waitcnt vmcnt(2) lgkmcnt(0)
	v_mul_f64 v[44:45], v[58:59], v[50:51]
	v_fmac_f64_e32 v[66:67], v[46:47], v[52:53]
	v_fma_f64 v[78:79], v[56:57], v[48:49], -v[44:45]
	ds_read_b128 v[44:47], v92 offset:2592
	v_mul_f64 v[76:77], v[56:57], v[50:51]
	v_fmac_f64_e32 v[76:77], v[58:59], v[48:49]
	s_waitcnt vmcnt(0) lgkmcnt(0)
	v_mul_f64 v[56:57], v[46:47], v[62:63]
	v_mul_f64 v[84:85], v[44:45], v[62:63]
	v_fma_f64 v[82:83], v[44:45], v[60:61], -v[56:57]
	v_fmac_f64_e32 v[84:85], v[46:47], v[60:61]
	ds_read_b128 v[44:47], v92 offset:3456
	v_add_f64 v[114:115], v[66:67], v[84:85]
	s_waitcnt lgkmcnt(0)
	v_mul_f64 v[56:57], v[46:47], v[70:71]
	v_mul_f64 v[88:89], v[44:45], v[70:71]
	v_fma_f64 v[86:87], v[44:45], v[68:69], -v[56:57]
	v_fmac_f64_e32 v[88:89], v[46:47], v[68:69]
	global_load_dwordx4 v[44:47], v[64:65], off offset:304
	ds_read_b128 v[56:59], v92 offset:4320
	s_waitcnt vmcnt(0) lgkmcnt(0)
	v_mul_f64 v[64:65], v[58:59], v[46:47]
	v_mul_f64 v[104:105], v[56:57], v[46:47]
	v_fma_f64 v[90:91], v[56:57], v[44:45], -v[64:65]
	v_fmac_f64_e32 v[104:105], v[58:59], v[44:45]
	ds_read_b128 v[56:59], v92
	v_add_f64 v[64:65], v[78:79], v[86:87]
	s_waitcnt lgkmcnt(0)
	; wave barrier
	s_waitcnt lgkmcnt(0)
	v_add_f64 v[106:107], v[56:57], v[78:79]
	v_fmac_f64_e32 v[56:57], -0.5, v[64:65]
	v_add_f64 v[64:65], v[76:77], -v[88:89]
	v_fma_f64 v[108:109], s[6:7], v[64:65], v[56:57]
	v_fmac_f64_e32 v[56:57], s[2:3], v[64:65]
	v_add_f64 v[64:65], v[76:77], v[88:89]
	v_add_f64 v[110:111], v[58:59], v[76:77]
	v_fmac_f64_e32 v[58:59], -0.5, v[64:65]
	v_add_f64 v[64:65], v[78:79], -v[86:87]
	v_fma_f64 v[78:79], s[2:3], v[64:65], v[58:59]
	v_fmac_f64_e32 v[58:59], s[6:7], v[64:65]
	v_add_f64 v[64:65], v[82:83], v[90:91]
	;; [unrolled: 6-line block ×3, first 2 shown]
	v_fmac_f64_e32 v[66:67], -0.5, v[64:65]
	v_add_f64 v[64:65], v[82:83], -v[90:91]
	v_fma_f64 v[116:117], s[2:3], v[64:65], v[66:67]
	v_fmac_f64_e32 v[66:67], s[6:7], v[64:65]
	v_mul_f64 v[82:83], v[74:75], -0.5
	v_mul_f64 v[84:85], v[66:67], -0.5
	v_fmac_f64_e32 v[82:83], s[6:7], v[66:67]
	v_fmac_f64_e32 v[84:85], s[2:3], v[74:75]
	v_add_f64 v[64:65], v[56:57], v[82:83]
	v_add_f64 v[66:67], v[58:59], v[84:85]
	v_add_f64 v[56:57], v[56:57], -v[82:83]
	v_add_f64 v[58:59], v[58:59], -v[84:85]
	v_add_f64 v[82:83], v[106:107], v[86:87]
	v_add_f64 v[84:85], v[110:111], v[88:89]
	;; [unrolled: 1-line block ×4, first 2 shown]
	v_mul_f64 v[90:91], v[116:117], s[6:7]
	v_mul_f64 v[106:107], v[112:113], s[2:3]
	v_add_f64 v[74:75], v[82:83], v[86:87]
	v_add_f64 v[76:77], v[84:85], v[88:89]
	v_fmac_f64_e32 v[90:91], 0.5, v[112:113]
	v_fmac_f64_e32 v[106:107], 0.5, v[116:117]
	v_add_f64 v[82:83], v[82:83], -v[86:87]
	v_add_f64 v[84:85], v[84:85], -v[88:89]
	v_add_f64 v[86:87], v[108:109], v[90:91]
	v_add_f64 v[88:89], v[78:79], v[106:107]
	v_add_f64 v[104:105], v[108:109], -v[90:91]
	v_add_f64 v[106:107], v[78:79], -v[106:107]
	ds_write_b128 v103, v[74:77]
	ds_write_b128 v103, v[86:89] offset:288
	ds_write_b128 v103, v[64:67] offset:576
	;; [unrolled: 1-line block ×5, first 2 shown]
	s_waitcnt lgkmcnt(0)
	; wave barrier
	s_waitcnt lgkmcnt(0)
	global_load_dwordx4 v[56:59], v73, s[10:11] offset:1680
	ds_read_b128 v[64:67], v92 offset:1728
	v_lshlrev_b32_e32 v84, 5, v72
	s_waitcnt vmcnt(0) lgkmcnt(0)
	v_mul_f64 v[74:75], v[66:67], v[58:59]
	v_mul_f64 v[104:105], v[64:65], v[58:59]
	v_fma_f64 v[90:91], v[64:65], v[56:57], -v[74:75]
	v_fmac_f64_e32 v[104:105], v[66:67], v[56:57]
	global_load_dwordx4 v[64:67], v73, s[10:11] offset:1696
	ds_read_b128 v[74:77], v92 offset:3456
	s_waitcnt vmcnt(0) lgkmcnt(0)
	v_mul_f64 v[78:79], v[76:77], v[66:67]
	v_fma_f64 v[106:107], v[74:75], v[64:65], -v[78:79]
	v_mul_f64 v[108:109], v[74:75], v[66:67]
	global_load_dwordx4 v[72:75], v84, s[10:11] offset:1680
	v_fmac_f64_e32 v[108:109], v[76:77], v[64:65]
	ds_read_b128 v[76:79], v92 offset:2592
	v_add_f64 v[118:119], v[104:105], -v[108:109]
	s_waitcnt vmcnt(0) lgkmcnt(0)
	v_mul_f64 v[82:83], v[78:79], v[74:75]
	v_mul_f64 v[112:113], v[76:77], v[74:75]
	v_fma_f64 v[110:111], v[76:77], v[72:73], -v[82:83]
	v_fmac_f64_e32 v[112:113], v[78:79], v[72:73]
	global_load_dwordx4 v[76:79], v84, s[10:11] offset:1696
	ds_read_b128 v[82:85], v92 offset:4320
	s_waitcnt vmcnt(0) lgkmcnt(0)
	v_mul_f64 v[86:87], v[84:85], v[78:79]
	v_mul_f64 v[116:117], v[82:83], v[78:79]
	v_fma_f64 v[114:115], v[82:83], v[76:77], -v[86:87]
	v_fmac_f64_e32 v[116:117], v[84:85], v[76:77]
	ds_read_b128 v[82:85], v92
	s_waitcnt lgkmcnt(0)
	v_add_f64 v[86:87], v[82:83], v[90:91]
	v_add_f64 v[88:89], v[84:85], v[104:105]
	;; [unrolled: 1-line block ×4, first 2 shown]
	ds_write_b128 v92, v[86:89]
	v_add_f64 v[86:87], v[90:91], v[106:107]
	v_fmac_f64_e32 v[82:83], -0.5, v[86:87]
	v_add_f64 v[86:87], v[104:105], v[108:109]
	v_fmac_f64_e32 v[84:85], -0.5, v[86:87]
	v_add_f64 v[90:91], v[90:91], -v[106:107]
	v_fma_f64 v[86:87], s[6:7], v[118:119], v[82:83]
	v_fma_f64 v[88:89], s[2:3], v[90:91], v[84:85]
	v_fmac_f64_e32 v[82:83], s[2:3], v[118:119]
	v_fmac_f64_e32 v[84:85], s[6:7], v[90:91]
	ds_write_b128 v92, v[82:85] offset:3456
	ds_read_b128 v[82:85], v92 offset:864
	ds_write_b128 v92, v[86:89] offset:1728
	v_add_f64 v[90:91], v[112:113], -v[116:117]
	v_add_f64 v[104:105], v[110:111], -v[114:115]
	s_waitcnt lgkmcnt(1)
	v_add_f64 v[86:87], v[82:83], v[110:111]
	v_add_f64 v[88:89], v[84:85], v[112:113]
	;; [unrolled: 1-line block ×4, first 2 shown]
	ds_write_b128 v92, v[86:89] offset:864
	v_add_f64 v[86:87], v[110:111], v[114:115]
	v_fmac_f64_e32 v[82:83], -0.5, v[86:87]
	v_add_f64 v[86:87], v[112:113], v[116:117]
	v_fmac_f64_e32 v[84:85], -0.5, v[86:87]
	v_fma_f64 v[86:87], s[6:7], v[90:91], v[82:83]
	v_fma_f64 v[88:89], s[2:3], v[104:105], v[84:85]
	v_fmac_f64_e32 v[82:83], s[2:3], v[90:91]
	v_fmac_f64_e32 v[84:85], s[6:7], v[104:105]
	ds_write_b128 v92, v[86:89] offset:2592
	ds_write_b128 v92, v[82:85] offset:4320
	s_waitcnt lgkmcnt(0)
	; wave barrier
	s_waitcnt lgkmcnt(0)
	global_load_dwordx4 v[84:87], v[80:81], off offset:1088
	ds_read_b128 v[88:91], v92
	ds_read_b128 v[104:107], v92 offset:1728
	v_lshl_add_u64 v[116:117], v[98:99], 0, s[8:9]
	ds_read_b128 v[108:111], v92 offset:3456
	s_movk_i32 s8, 0x2000
	v_add_co_u32_e32 v98, vcc, s8, v98
	s_waitcnt vmcnt(0) lgkmcnt(2)
	v_mul_f64 v[80:81], v[90:91], v[86:87]
	v_mul_f64 v[82:83], v[88:89], v[86:87]
	v_fma_f64 v[80:81], v[88:89], v[84:85], -v[80:81]
	v_fmac_f64_e32 v[82:83], v[90:91], v[84:85]
	global_load_dwordx4 v[88:91], v[116:117], off offset:1728
	v_addc_co_u32_e32 v99, vcc, 0, v99, vcc
	s_waitcnt vmcnt(0) lgkmcnt(1)
	v_mul_f64 v[84:85], v[106:107], v[90:91]
	v_mul_f64 v[86:87], v[104:105], v[90:91]
	v_fma_f64 v[84:85], v[104:105], v[88:89], -v[84:85]
	v_fmac_f64_e32 v[86:87], v[106:107], v[88:89]
	global_load_dwordx4 v[104:107], v[116:117], off offset:3456
	s_waitcnt vmcnt(0) lgkmcnt(0)
	v_mul_f64 v[88:89], v[110:111], v[106:107]
	v_mul_f64 v[90:91], v[108:109], v[106:107]
	v_fma_f64 v[88:89], v[108:109], v[104:105], -v[88:89]
	v_fmac_f64_e32 v[90:91], v[110:111], v[104:105]
	global_load_dwordx4 v[104:107], v[116:117], off offset:864
	ds_read_b128 v[108:111], v92 offset:864
	s_waitcnt vmcnt(0) lgkmcnt(0)
	v_mul_f64 v[112:113], v[110:111], v[106:107]
	v_mul_f64 v[114:115], v[108:109], v[106:107]
	v_fma_f64 v[112:113], v[108:109], v[104:105], -v[112:113]
	v_fmac_f64_e32 v[114:115], v[110:111], v[104:105]
	global_load_dwordx4 v[104:107], v[116:117], off offset:2592
	ds_read_b128 v[108:111], v92 offset:2592
	;; [unrolled: 7-line block ×3, first 2 shown]
	s_waitcnt vmcnt(0) lgkmcnt(0)
	v_mul_f64 v[98:99], v[110:111], v[106:107]
	v_mul_f64 v[122:123], v[108:109], v[106:107]
	v_fma_f64 v[120:121], v[108:109], v[104:105], -v[98:99]
	v_fmac_f64_e32 v[122:123], v[110:111], v[104:105]
	ds_write_b128 v92, v[80:83]
	ds_write_b128 v92, v[84:87] offset:1728
	ds_write_b128 v92, v[88:91] offset:3456
	;; [unrolled: 1-line block ×5, first 2 shown]
	s_waitcnt lgkmcnt(0)
	; wave barrier
	s_waitcnt lgkmcnt(0)
	ds_read_b128 v[80:83], v92
	ds_read_b128 v[84:87], v92 offset:1728
	ds_read_b128 v[88:91], v92 offset:3456
	s_waitcnt lgkmcnt(1)
	v_add_f64 v[98:99], v[80:81], v[84:85]
	s_waitcnt lgkmcnt(0)
	v_add_f64 v[104:105], v[98:99], v[88:89]
	v_add_f64 v[98:99], v[82:83], v[86:87]
	;; [unrolled: 1-line block ×4, first 2 shown]
	v_add_f64 v[116:117], v[86:87], -v[90:91]
	v_add_f64 v[118:119], v[86:87], v[90:91]
	v_add_f64 v[120:121], v[84:85], -v[88:89]
	ds_read_b128 v[84:87], v92 offset:864
	ds_read_b128 v[88:91], v92 offset:2592
	;; [unrolled: 1-line block ×3, first 2 shown]
	v_fmac_f64_e32 v[80:81], -0.5, v[98:99]
	v_fmac_f64_e32 v[82:83], -0.5, v[118:119]
	s_waitcnt lgkmcnt(0)
	v_add_f64 v[114:115], v[86:87], v[90:91]
	v_add_f64 v[112:113], v[84:85], v[88:89]
	;; [unrolled: 1-line block ×4, first 2 shown]
	v_add_f64 v[124:125], v[90:91], -v[110:111]
	v_add_f64 v[110:111], v[90:91], v[110:111]
	v_add_f64 v[112:113], v[112:113], v[108:109]
	v_add_f64 v[108:109], v[88:89], -v[108:109]
	v_fma_f64 v[88:89], s[2:3], v[116:117], v[80:81]
	v_fma_f64 v[90:91], s[6:7], v[120:121], v[82:83]
	v_fmac_f64_e32 v[80:81], s[6:7], v[116:117]
	v_fmac_f64_e32 v[82:83], s[2:3], v[120:121]
	v_fmac_f64_e32 v[84:85], -0.5, v[122:123]
	v_fmac_f64_e32 v[86:87], -0.5, v[110:111]
	; wave barrier
	ds_write_b128 v95, v[104:107]
	ds_write_b128 v95, v[88:91] offset:16
	ds_write_b128 v95, v[80:83] offset:32
	ds_write_b128 v101, v[112:115]
	v_fma_f64 v[80:81], s[2:3], v[124:125], v[84:85]
	v_fma_f64 v[82:83], s[6:7], v[108:109], v[86:87]
	v_fmac_f64_e32 v[84:85], s[6:7], v[124:125]
	v_fmac_f64_e32 v[86:87], s[2:3], v[108:109]
	ds_write_b128 v101, v[80:83] offset:16
	ds_write_b128 v101, v[84:87] offset:32
	s_waitcnt lgkmcnt(0)
	; wave barrier
	s_waitcnt lgkmcnt(0)
	ds_read_b128 v[80:83], v92 offset:864
	v_mov_b32_e32 v95, v96
	s_waitcnt lgkmcnt(0)
	v_mul_f64 v[84:85], v[38:39], v[82:83]
	v_mul_f64 v[38:39], v[38:39], v[80:81]
	v_fmac_f64_e32 v[84:85], v[36:37], v[80:81]
	v_fma_f64 v[80:81], v[36:37], v[82:83], -v[38:39]
	ds_read_b128 v[36:39], v92 offset:1728
	s_waitcnt lgkmcnt(0)
	v_mul_f64 v[82:83], v[34:35], v[38:39]
	v_mul_f64 v[34:35], v[34:35], v[36:37]
	v_fmac_f64_e32 v[82:83], v[32:33], v[36:37]
	v_fma_f64 v[36:37], v[32:33], v[38:39], -v[34:35]
	ds_read_b128 v[32:35], v92 offset:2592
	;; [unrolled: 6-line block ×3, first 2 shown]
	v_add_f64 v[106:107], v[80:81], v[32:33]
	s_waitcnt lgkmcnt(0)
	v_mul_f64 v[34:35], v[26:27], v[30:31]
	v_mul_f64 v[26:27], v[26:27], v[28:29]
	v_fmac_f64_e32 v[34:35], v[24:25], v[28:29]
	v_fma_f64 v[86:87], v[24:25], v[30:31], -v[26:27]
	ds_read_b128 v[24:27], v92 offset:4320
	v_add_f64 v[28:29], v[82:83], v[34:35]
	s_waitcnt lgkmcnt(0)
	v_mul_f64 v[88:89], v[42:43], v[26:27]
	v_fmac_f64_e32 v[88:89], v[40:41], v[24:25]
	v_mul_f64 v[24:25], v[42:43], v[24:25]
	v_fma_f64 v[40:41], v[40:41], v[26:27], -v[24:25]
	ds_read_b128 v[24:27], v92
	s_waitcnt lgkmcnt(0)
	; wave barrier
	s_waitcnt lgkmcnt(0)
	v_add_f64 v[42:43], v[24:25], v[82:83]
	v_fmac_f64_e32 v[24:25], -0.5, v[28:29]
	v_add_f64 v[28:29], v[36:37], -v[86:87]
	v_fma_f64 v[90:91], s[2:3], v[28:29], v[24:25]
	v_fmac_f64_e32 v[24:25], s[6:7], v[28:29]
	v_add_f64 v[28:29], v[36:37], v[86:87]
	v_add_f64 v[98:99], v[26:27], v[36:37]
	v_fmac_f64_e32 v[26:27], -0.5, v[28:29]
	v_add_f64 v[28:29], v[82:83], -v[34:35]
	v_fma_f64 v[82:83], s[6:7], v[28:29], v[26:27]
	v_fmac_f64_e32 v[26:27], s[2:3], v[28:29]
	v_add_f64 v[28:29], v[38:39], v[88:89]
	;; [unrolled: 6-line block ×3, first 2 shown]
	v_fmac_f64_e32 v[80:81], -0.5, v[28:29]
	v_add_f64 v[28:29], v[38:39], -v[88:89]
	v_fma_f64 v[108:109], s[6:7], v[28:29], v[80:81]
	v_fmac_f64_e32 v[80:81], s[2:3], v[28:29]
	v_mul_f64 v[38:39], v[80:81], -0.5
	v_mul_f64 v[32:33], v[80:81], s[2:3]
	v_fmac_f64_e32 v[38:39], s[6:7], v[84:85]
	v_fmac_f64_e32 v[32:33], -0.5, v[84:85]
	v_add_f64 v[30:31], v[26:27], v[38:39]
	v_add_f64 v[26:27], v[26:27], -v[38:39]
	v_add_f64 v[38:39], v[42:43], v[34:35]
	v_add_f64 v[42:43], v[98:99], v[86:87]
	;; [unrolled: 1-line block ×4, first 2 shown]
	v_mul_f64 v[80:81], v[108:109], s[2:3]
	v_mul_f64 v[84:85], v[108:109], 0.5
	v_add_f64 v[28:29], v[24:25], v[32:33]
	v_add_f64 v[24:25], v[24:25], -v[32:33]
	v_add_f64 v[32:33], v[38:39], v[36:37]
	v_add_f64 v[34:35], v[42:43], v[40:41]
	v_fmac_f64_e32 v[80:81], 0.5, v[104:105]
	v_fmac_f64_e32 v[84:85], s[6:7], v[104:105]
	v_add_f64 v[36:37], v[38:39], -v[36:37]
	v_add_f64 v[38:39], v[42:43], -v[40:41]
	v_add_f64 v[40:41], v[90:91], v[80:81]
	v_add_f64 v[42:43], v[82:83], v[84:85]
	v_add_f64 v[80:81], v[90:91], -v[80:81]
	v_add_f64 v[82:83], v[82:83], -v[84:85]
	ds_write_b128 v102, v[32:35]
	ds_write_b128 v102, v[40:43] offset:48
	ds_write_b128 v102, v[28:31] offset:96
	;; [unrolled: 1-line block ×5, first 2 shown]
	s_waitcnt lgkmcnt(0)
	; wave barrier
	s_waitcnt lgkmcnt(0)
	ds_read_b128 v[28:31], v92 offset:1728
	ds_read_b128 v[24:27], v92 offset:864
	s_waitcnt lgkmcnt(1)
	v_mul_f64 v[32:33], v[50:51], v[30:31]
	v_fmac_f64_e32 v[32:33], v[48:49], v[28:29]
	v_mul_f64 v[28:29], v[50:51], v[28:29]
	v_fma_f64 v[34:35], v[48:49], v[30:31], -v[28:29]
	ds_read_b128 v[28:31], v92 offset:3456
	s_waitcnt lgkmcnt(0)
	v_mul_f64 v[40:41], v[70:71], v[30:31]
	v_fmac_f64_e32 v[40:41], v[68:69], v[28:29]
	v_mul_f64 v[28:29], v[70:71], v[28:29]
	v_fma_f64 v[48:49], v[68:69], v[30:31], -v[28:29]
	ds_read_b128 v[28:31], v92
	v_mul_f64 v[42:43], v[54:55], v[26:27]
	v_fmac_f64_e32 v[42:43], v[52:53], v[24:25]
	v_mul_f64 v[24:25], v[54:55], v[24:25]
	v_fma_f64 v[52:53], v[52:53], v[26:27], -v[24:25]
	ds_read_b128 v[24:27], v92 offset:2592
	s_waitcnt lgkmcnt(0)
	v_mul_f64 v[36:37], v[62:63], v[26:27]
	v_fmac_f64_e32 v[36:37], v[60:61], v[24:25]
	v_mul_f64 v[24:25], v[62:63], v[24:25]
	v_fma_f64 v[38:39], v[60:61], v[26:27], -v[24:25]
	ds_read_b128 v[24:27], v92 offset:4320
	s_waitcnt lgkmcnt(0)
	; wave barrier
	s_waitcnt lgkmcnt(0)
	v_mul_f64 v[50:51], v[46:47], v[26:27]
	v_fmac_f64_e32 v[50:51], v[44:45], v[24:25]
	v_mul_f64 v[24:25], v[46:47], v[24:25]
	v_fma_f64 v[24:25], v[44:45], v[26:27], -v[24:25]
	v_add_f64 v[26:27], v[28:29], v[32:33]
	v_add_f64 v[44:45], v[26:27], v[40:41]
	v_add_f64 v[26:27], v[32:33], v[40:41]
	v_fmac_f64_e32 v[28:29], -0.5, v[26:27]
	v_add_f64 v[26:27], v[34:35], -v[48:49]
	v_fma_f64 v[46:47], s[2:3], v[26:27], v[28:29]
	v_fmac_f64_e32 v[28:29], s[6:7], v[26:27]
	v_add_f64 v[26:27], v[30:31], v[34:35]
	v_add_f64 v[54:55], v[26:27], v[48:49]
	v_add_f64 v[26:27], v[34:35], v[48:49]
	v_fmac_f64_e32 v[30:31], -0.5, v[26:27]
	v_add_f64 v[26:27], v[32:33], -v[40:41]
	v_fma_f64 v[48:49], s[6:7], v[26:27], v[30:31]
	v_fmac_f64_e32 v[30:31], s[2:3], v[26:27]
	v_add_f64 v[26:27], v[42:43], v[36:37]
	v_add_f64 v[34:35], v[26:27], v[50:51]
	v_add_f64 v[26:27], v[36:37], v[50:51]
	v_fmac_f64_e32 v[42:43], -0.5, v[26:27]
	v_add_f64 v[26:27], v[38:39], -v[24:25]
	v_fma_f64 v[40:41], s[2:3], v[26:27], v[42:43]
	v_fmac_f64_e32 v[42:43], s[6:7], v[26:27]
	v_add_f64 v[26:27], v[52:53], v[38:39]
	v_add_f64 v[60:61], v[26:27], v[24:25]
	v_add_f64 v[24:25], v[38:39], v[24:25]
	v_fmac_f64_e32 v[52:53], -0.5, v[24:25]
	v_add_f64 v[24:25], v[36:37], -v[50:51]
	v_fma_f64 v[26:27], s[6:7], v[24:25], v[52:53]
	v_fmac_f64_e32 v[52:53], s[2:3], v[24:25]
	v_mul_f64 v[50:51], v[26:27], s[2:3]
	v_mul_f64 v[62:63], v[26:27], 0.5
	v_mul_f64 v[68:69], v[52:53], s[2:3]
	v_mul_f64 v[52:53], v[52:53], -0.5
	v_fmac_f64_e32 v[50:51], 0.5, v[40:41]
	v_fmac_f64_e32 v[62:63], s[6:7], v[40:41]
	v_fmac_f64_e32 v[68:69], -0.5, v[42:43]
	v_fmac_f64_e32 v[52:53], s[6:7], v[42:43]
	v_add_f64 v[24:25], v[44:45], v[34:35]
	v_add_f64 v[32:33], v[46:47], v[50:51]
	;; [unrolled: 1-line block ×3, first 2 shown]
	v_add_f64 v[36:37], v[44:45], -v[34:35]
	v_add_f64 v[38:39], v[54:55], -v[60:61]
	v_add_f64 v[40:41], v[28:29], v[68:69]
	v_add_f64 v[34:35], v[48:49], v[62:63]
	;; [unrolled: 1-line block ×3, first 2 shown]
	v_add_f64 v[44:45], v[46:47], -v[50:51]
	v_add_f64 v[28:29], v[28:29], -v[68:69]
	;; [unrolled: 1-line block ×4, first 2 shown]
	ds_write_b128 v103, v[24:27]
	ds_write_b128 v103, v[32:35] offset:288
	ds_write_b128 v103, v[40:43] offset:576
	;; [unrolled: 1-line block ×5, first 2 shown]
	s_waitcnt lgkmcnt(0)
	; wave barrier
	s_waitcnt lgkmcnt(0)
	ds_read_b128 v[24:27], v92
	ds_read_b128 v[28:31], v92 offset:1728
	ds_read_b128 v[32:35], v92 offset:3456
	;; [unrolled: 1-line block ×5, first 2 shown]
	s_waitcnt lgkmcnt(4)
	v_mul_f64 v[48:49], v[58:59], v[30:31]
	v_fmac_f64_e32 v[48:49], v[56:57], v[28:29]
	v_mul_f64 v[28:29], v[58:59], v[28:29]
	v_fma_f64 v[50:51], v[56:57], v[30:31], -v[28:29]
	s_waitcnt lgkmcnt(3)
	v_mul_f64 v[52:53], v[66:67], v[34:35]
	v_mul_f64 v[28:29], v[66:67], v[32:33]
	v_fmac_f64_e32 v[52:53], v[64:65], v[32:33]
	v_fma_f64 v[34:35], v[64:65], v[34:35], -v[28:29]
	s_waitcnt lgkmcnt(1)
	v_mul_f64 v[28:29], v[74:75], v[40:41]
	v_fma_f64 v[56:57], v[72:73], v[42:43], -v[28:29]
	s_waitcnt lgkmcnt(0)
	v_mul_f64 v[28:29], v[78:79], v[44:45]
	v_add_f64 v[30:31], v[48:49], v[52:53]
	v_mul_f64 v[58:59], v[78:79], v[46:47]
	v_fma_f64 v[46:47], v[76:77], v[46:47], -v[28:29]
	v_add_f64 v[28:29], v[24:25], v[48:49]
	v_fmac_f64_e32 v[24:25], -0.5, v[30:31]
	v_add_f64 v[30:31], v[50:51], -v[34:35]
	v_mul_f64 v[54:55], v[74:75], v[42:43]
	v_fma_f64 v[32:33], s[2:3], v[30:31], v[24:25]
	v_fmac_f64_e32 v[24:25], s[6:7], v[30:31]
	v_add_f64 v[30:31], v[26:27], v[50:51]
	v_fmac_f64_e32 v[54:55], v[72:73], v[40:41]
	v_fmac_f64_e32 v[58:59], v[76:77], v[44:45]
	v_add_f64 v[30:31], v[30:31], v[34:35]
	v_add_f64 v[34:35], v[50:51], v[34:35]
	v_fmac_f64_e32 v[26:27], -0.5, v[34:35]
	v_add_f64 v[40:41], v[48:49], -v[52:53]
	v_add_f64 v[42:43], v[54:55], v[58:59]
	v_fma_f64 v[34:35], s[6:7], v[40:41], v[26:27]
	v_fmac_f64_e32 v[26:27], s[2:3], v[40:41]
	v_add_f64 v[40:41], v[36:37], v[54:55]
	v_fmac_f64_e32 v[36:37], -0.5, v[42:43]
	v_add_f64 v[42:43], v[56:57], -v[46:47]
	v_fma_f64 v[44:45], s[2:3], v[42:43], v[36:37]
	v_fmac_f64_e32 v[36:37], s[6:7], v[42:43]
	v_add_f64 v[42:43], v[38:39], v[56:57]
	v_add_f64 v[42:43], v[42:43], v[46:47]
	;; [unrolled: 1-line block ×4, first 2 shown]
	v_fmac_f64_e32 v[38:39], -0.5, v[46:47]
	v_add_f64 v[48:49], v[54:55], -v[58:59]
	v_add_f64 v[40:41], v[40:41], v[58:59]
	v_fma_f64 v[46:47], s[6:7], v[48:49], v[38:39]
	v_fmac_f64_e32 v[38:39], s[2:3], v[48:49]
	ds_write_b128 v92, v[28:31]
	ds_write_b128 v92, v[32:35] offset:1728
	ds_write_b128 v92, v[24:27] offset:3456
	;; [unrolled: 1-line block ×5, first 2 shown]
	s_waitcnt lgkmcnt(0)
	; wave barrier
	s_waitcnt lgkmcnt(0)
	ds_read_b128 v[24:27], v92
	v_mov_b32_e32 v32, s0
	v_mov_b32_e32 v33, s1
	s_mov_b32 s0, 0xfcd6e9e0
	s_mov_b32 s1, 0x3f6948b0
	s_waitcnt lgkmcnt(0)
	v_mul_f64 v[28:29], v[14:15], v[26:27]
	v_mul_f64 v[14:15], v[14:15], v[24:25]
	v_fmac_f64_e32 v[28:29], v[12:13], v[24:25]
	v_fma_f64 v[12:13], v[12:13], v[26:27], -v[14:15]
	v_mad_u64_u32 v[24:25], s[2:3], s4, v100, 0
	v_mul_f64 v[30:31], v[12:13], s[0:1]
	v_mov_b32_e32 v12, v25
	v_mad_u64_u32 v[26:27], s[2:3], s5, v100, v[12:13]
	ds_read_b128 v[12:15], v92 offset:1728
	v_mov_b32_e32 v25, v26
	v_lshl_add_u64 v[26:27], v[94:95], 4, v[32:33]
	v_lshl_add_u64 v[32:33], v[24:25], 4, v[26:27]
	v_mul_f64 v[28:29], v[28:29], s[0:1]
	s_waitcnt lgkmcnt(0)
	v_mul_f64 v[24:25], v[22:23], v[14:15]
	v_fmac_f64_e32 v[24:25], v[20:21], v[12:13]
	v_mul_f64 v[12:13], v[22:23], v[12:13]
	v_fma_f64 v[12:13], v[20:21], v[14:15], -v[12:13]
	v_mul_f64 v[26:27], v[12:13], s[0:1]
	ds_read_b128 v[12:15], v92 offset:3456
	global_store_dwordx4 v[32:33], v[28:31], off
	v_mul_f64 v[24:25], v[24:25], s[0:1]
	s_waitcnt lgkmcnt(0)
	v_mul_f64 v[20:21], v[18:19], v[14:15]
	v_fmac_f64_e32 v[20:21], v[16:17], v[12:13]
	v_mul_f64 v[12:13], v[18:19], v[12:13]
	v_fma_f64 v[12:13], v[16:17], v[14:15], -v[12:13]
	v_mul_f64 v[22:23], v[12:13], s[0:1]
	ds_read_b128 v[12:15], v92 offset:864
	v_mad_u64_u32 v[28:29], s[2:3], s4, v93, v[32:33]
	s_mul_i32 s2, s5, 0x6c0
	s_nop 0
	v_add_u32_e32 v29, s2, v29
	s_waitcnt lgkmcnt(0)
	v_mul_f64 v[16:17], v[10:11], v[14:15]
	v_mul_f64 v[10:11], v[10:11], v[12:13]
	v_fmac_f64_e32 v[16:17], v[8:9], v[12:13]
	v_fma_f64 v[8:9], v[8:9], v[14:15], -v[10:11]
	v_mul_f64 v[18:19], v[8:9], s[0:1]
	ds_read_b128 v[8:11], v92 offset:2592
	global_store_dwordx4 v[28:29], v[24:27], off
	v_mul_f64 v[20:21], v[20:21], s[0:1]
	s_mul_i32 s3, s5, 0xfffff5e0
	v_mad_u64_u32 v[24:25], s[6:7], s4, v93, v[28:29]
	s_waitcnt lgkmcnt(0)
	v_mul_f64 v[12:13], v[6:7], v[10:11]
	v_mul_f64 v[6:7], v[6:7], v[8:9]
	v_fmac_f64_e32 v[12:13], v[4:5], v[8:9]
	v_fma_f64 v[4:5], v[4:5], v[10:11], -v[6:7]
	v_mul_f64 v[14:15], v[4:5], s[0:1]
	ds_read_b128 v[4:7], v92 offset:4320
	v_add_u32_e32 v25, s2, v25
	global_store_dwordx4 v[24:25], v[20:23], off
	s_sub_i32 s3, s3, s4
	v_mul_f64 v[16:17], v[16:17], s[0:1]
	v_mad_u64_u32 v[20:21], s[6:7], s4, v97, v[24:25]
	v_add_u32_e32 v21, s3, v21
	global_store_dwordx4 v[20:21], v[16:19], off
	s_waitcnt lgkmcnt(0)
	v_mul_f64 v[8:9], v[2:3], v[6:7]
	v_mul_f64 v[2:3], v[2:3], v[4:5]
	v_mad_u64_u32 v[16:17], s[6:7], s4, v93, v[20:21]
	v_add_u32_e32 v17, s2, v17
	v_fmac_f64_e32 v[8:9], v[0:1], v[4:5]
	v_fma_f64 v[0:1], v[0:1], v[6:7], -v[2:3]
	v_mul_f64 v[12:13], v[12:13], s[0:1]
	v_mul_f64 v[8:9], v[8:9], s[0:1]
	;; [unrolled: 1-line block ×3, first 2 shown]
	v_mad_u64_u32 v[0:1], s[0:1], s4, v93, v[16:17]
	v_add_u32_e32 v1, s2, v1
	global_store_dwordx4 v[16:17], v[12:15], off
	global_store_dwordx4 v[0:1], v[8:11], off
.LBB0_2:
	s_endpgm
	.section	.rodata,"a",@progbits
	.p2align	6, 0x0
	.amdhsa_kernel bluestein_single_fwd_len324_dim1_dp_op_CI_CI
		.amdhsa_group_segment_fixed_size 5184
		.amdhsa_private_segment_fixed_size 0
		.amdhsa_kernarg_size 104
		.amdhsa_user_sgpr_count 2
		.amdhsa_user_sgpr_dispatch_ptr 0
		.amdhsa_user_sgpr_queue_ptr 0
		.amdhsa_user_sgpr_kernarg_segment_ptr 1
		.amdhsa_user_sgpr_dispatch_id 0
		.amdhsa_user_sgpr_kernarg_preload_length 0
		.amdhsa_user_sgpr_kernarg_preload_offset 0
		.amdhsa_user_sgpr_private_segment_size 0
		.amdhsa_uses_dynamic_stack 0
		.amdhsa_enable_private_segment 0
		.amdhsa_system_sgpr_workgroup_id_x 1
		.amdhsa_system_sgpr_workgroup_id_y 0
		.amdhsa_system_sgpr_workgroup_id_z 0
		.amdhsa_system_sgpr_workgroup_info 0
		.amdhsa_system_vgpr_workitem_id 0
		.amdhsa_next_free_vgpr 126
		.amdhsa_next_free_sgpr 20
		.amdhsa_accum_offset 128
		.amdhsa_reserve_vcc 1
		.amdhsa_float_round_mode_32 0
		.amdhsa_float_round_mode_16_64 0
		.amdhsa_float_denorm_mode_32 3
		.amdhsa_float_denorm_mode_16_64 3
		.amdhsa_dx10_clamp 1
		.amdhsa_ieee_mode 1
		.amdhsa_fp16_overflow 0
		.amdhsa_tg_split 0
		.amdhsa_exception_fp_ieee_invalid_op 0
		.amdhsa_exception_fp_denorm_src 0
		.amdhsa_exception_fp_ieee_div_zero 0
		.amdhsa_exception_fp_ieee_overflow 0
		.amdhsa_exception_fp_ieee_underflow 0
		.amdhsa_exception_fp_ieee_inexact 0
		.amdhsa_exception_int_div_zero 0
	.end_amdhsa_kernel
	.text
.Lfunc_end0:
	.size	bluestein_single_fwd_len324_dim1_dp_op_CI_CI, .Lfunc_end0-bluestein_single_fwd_len324_dim1_dp_op_CI_CI
                                        ; -- End function
	.section	.AMDGPU.csdata,"",@progbits
; Kernel info:
; codeLenInByte = 5768
; NumSgprs: 26
; NumVgprs: 126
; NumAgprs: 0
; TotalNumVgprs: 126
; ScratchSize: 0
; MemoryBound: 0
; FloatMode: 240
; IeeeMode: 1
; LDSByteSize: 5184 bytes/workgroup (compile time only)
; SGPRBlocks: 3
; VGPRBlocks: 15
; NumSGPRsForWavesPerEU: 26
; NumVGPRsForWavesPerEU: 126
; AccumOffset: 128
; Occupancy: 4
; WaveLimiterHint : 1
; COMPUTE_PGM_RSRC2:SCRATCH_EN: 0
; COMPUTE_PGM_RSRC2:USER_SGPR: 2
; COMPUTE_PGM_RSRC2:TRAP_HANDLER: 0
; COMPUTE_PGM_RSRC2:TGID_X_EN: 1
; COMPUTE_PGM_RSRC2:TGID_Y_EN: 0
; COMPUTE_PGM_RSRC2:TGID_Z_EN: 0
; COMPUTE_PGM_RSRC2:TIDIG_COMP_CNT: 0
; COMPUTE_PGM_RSRC3_GFX90A:ACCUM_OFFSET: 31
; COMPUTE_PGM_RSRC3_GFX90A:TG_SPLIT: 0
	.text
	.p2alignl 6, 3212836864
	.fill 256, 4, 3212836864
	.type	__hip_cuid_d9a72e61e578c8ed,@object ; @__hip_cuid_d9a72e61e578c8ed
	.section	.bss,"aw",@nobits
	.globl	__hip_cuid_d9a72e61e578c8ed
__hip_cuid_d9a72e61e578c8ed:
	.byte	0                               ; 0x0
	.size	__hip_cuid_d9a72e61e578c8ed, 1

	.ident	"AMD clang version 19.0.0git (https://github.com/RadeonOpenCompute/llvm-project roc-6.4.0 25133 c7fe45cf4b819c5991fe208aaa96edf142730f1d)"
	.section	".note.GNU-stack","",@progbits
	.addrsig
	.addrsig_sym __hip_cuid_d9a72e61e578c8ed
	.amdgpu_metadata
---
amdhsa.kernels:
  - .agpr_count:     0
    .args:
      - .actual_access:  read_only
        .address_space:  global
        .offset:         0
        .size:           8
        .value_kind:     global_buffer
      - .actual_access:  read_only
        .address_space:  global
        .offset:         8
        .size:           8
        .value_kind:     global_buffer
      - .actual_access:  read_only
        .address_space:  global
        .offset:         16
        .size:           8
        .value_kind:     global_buffer
      - .actual_access:  read_only
        .address_space:  global
        .offset:         24
        .size:           8
        .value_kind:     global_buffer
      - .actual_access:  read_only
        .address_space:  global
        .offset:         32
        .size:           8
        .value_kind:     global_buffer
      - .offset:         40
        .size:           8
        .value_kind:     by_value
      - .address_space:  global
        .offset:         48
        .size:           8
        .value_kind:     global_buffer
      - .address_space:  global
        .offset:         56
        .size:           8
        .value_kind:     global_buffer
      - .address_space:  global
        .offset:         64
        .size:           8
        .value_kind:     global_buffer
      - .address_space:  global
        .offset:         72
        .size:           8
        .value_kind:     global_buffer
      - .offset:         80
        .size:           4
        .value_kind:     by_value
      - .address_space:  global
        .offset:         88
        .size:           8
        .value_kind:     global_buffer
      - .address_space:  global
        .offset:         96
        .size:           8
        .value_kind:     global_buffer
    .group_segment_fixed_size: 5184
    .kernarg_segment_align: 8
    .kernarg_segment_size: 104
    .language:       OpenCL C
    .language_version:
      - 2
      - 0
    .max_flat_workgroup_size: 54
    .name:           bluestein_single_fwd_len324_dim1_dp_op_CI_CI
    .private_segment_fixed_size: 0
    .sgpr_count:     26
    .sgpr_spill_count: 0
    .symbol:         bluestein_single_fwd_len324_dim1_dp_op_CI_CI.kd
    .uniform_work_group_size: 1
    .uses_dynamic_stack: false
    .vgpr_count:     126
    .vgpr_spill_count: 0
    .wavefront_size: 64
amdhsa.target:   amdgcn-amd-amdhsa--gfx950
amdhsa.version:
  - 1
  - 2
...

	.end_amdgpu_metadata
